;; amdgpu-corpus repo=ROCm/rocFFT kind=compiled arch=gfx1201 opt=O3
	.text
	.amdgcn_target "amdgcn-amd-amdhsa--gfx1201"
	.amdhsa_code_object_version 6
	.protected	fft_rtc_fwd_len192_factors_6_4_4_2_wgs_128_tpt_16_halfLds_dp_ip_CI_unitstride_sbrr_C2R_dirReg ; -- Begin function fft_rtc_fwd_len192_factors_6_4_4_2_wgs_128_tpt_16_halfLds_dp_ip_CI_unitstride_sbrr_C2R_dirReg
	.globl	fft_rtc_fwd_len192_factors_6_4_4_2_wgs_128_tpt_16_halfLds_dp_ip_CI_unitstride_sbrr_C2R_dirReg
	.p2align	8
	.type	fft_rtc_fwd_len192_factors_6_4_4_2_wgs_128_tpt_16_halfLds_dp_ip_CI_unitstride_sbrr_C2R_dirReg,@function
fft_rtc_fwd_len192_factors_6_4_4_2_wgs_128_tpt_16_halfLds_dp_ip_CI_unitstride_sbrr_C2R_dirReg: ; @fft_rtc_fwd_len192_factors_6_4_4_2_wgs_128_tpt_16_halfLds_dp_ip_CI_unitstride_sbrr_C2R_dirReg
; %bb.0:
	s_clause 0x2
	s_load_b128 s[4:7], s[0:1], 0x0
	s_load_b64 s[8:9], s[0:1], 0x50
	s_load_b64 s[10:11], s[0:1], 0x18
	v_lshrrev_b32_e32 v7, 4, v0
	v_mov_b32_e32 v3, 0
	v_mov_b32_e32 v1, 0
	;; [unrolled: 1-line block ×3, first 2 shown]
	s_delay_alu instid0(VALU_DEP_4) | instskip(NEXT) | instid1(VALU_DEP_4)
	v_lshl_or_b32 v5, ttmp9, 3, v7
	v_mov_b32_e32 v6, v3
	s_wait_kmcnt 0x0
	v_cmp_lt_u64_e64 s2, s[6:7], 2
	s_delay_alu instid0(VALU_DEP_1)
	s_and_b32 vcc_lo, exec_lo, s2
	s_cbranch_vccnz .LBB0_8
; %bb.1:
	s_load_b64 s[2:3], s[0:1], 0x10
	v_mov_b32_e32 v1, 0
	v_mov_b32_e32 v2, 0
	s_add_nc_u64 s[12:13], s[10:11], 8
	s_mov_b64 s[14:15], 1
	s_wait_kmcnt 0x0
	s_add_nc_u64 s[16:17], s[2:3], 8
	s_mov_b32 s3, 0
.LBB0_2:                                ; =>This Inner Loop Header: Depth=1
	s_load_b64 s[18:19], s[16:17], 0x0
                                        ; implicit-def: $vgpr9_vgpr10
	s_mov_b32 s2, exec_lo
	s_wait_kmcnt 0x0
	v_or_b32_e32 v4, s19, v6
	s_delay_alu instid0(VALU_DEP_1)
	v_cmpx_ne_u64_e32 0, v[3:4]
	s_wait_alu 0xfffe
	s_xor_b32 s20, exec_lo, s2
	s_cbranch_execz .LBB0_4
; %bb.3:                                ;   in Loop: Header=BB0_2 Depth=1
	s_cvt_f32_u32 s2, s18
	s_cvt_f32_u32 s21, s19
	s_sub_nc_u64 s[24:25], 0, s[18:19]
	s_wait_alu 0xfffe
	s_delay_alu instid0(SALU_CYCLE_1) | instskip(SKIP_1) | instid1(SALU_CYCLE_2)
	s_fmamk_f32 s2, s21, 0x4f800000, s2
	s_wait_alu 0xfffe
	v_s_rcp_f32 s2, s2
	s_delay_alu instid0(TRANS32_DEP_1) | instskip(SKIP_1) | instid1(SALU_CYCLE_2)
	s_mul_f32 s2, s2, 0x5f7ffffc
	s_wait_alu 0xfffe
	s_mul_f32 s21, s2, 0x2f800000
	s_wait_alu 0xfffe
	s_delay_alu instid0(SALU_CYCLE_2) | instskip(SKIP_1) | instid1(SALU_CYCLE_2)
	s_trunc_f32 s21, s21
	s_wait_alu 0xfffe
	s_fmamk_f32 s2, s21, 0xcf800000, s2
	s_cvt_u32_f32 s23, s21
	s_wait_alu 0xfffe
	s_delay_alu instid0(SALU_CYCLE_1) | instskip(SKIP_1) | instid1(SALU_CYCLE_2)
	s_cvt_u32_f32 s22, s2
	s_wait_alu 0xfffe
	s_mul_u64 s[26:27], s[24:25], s[22:23]
	s_wait_alu 0xfffe
	s_mul_hi_u32 s29, s22, s27
	s_mul_i32 s28, s22, s27
	s_mul_hi_u32 s2, s22, s26
	s_mul_i32 s30, s23, s26
	s_wait_alu 0xfffe
	s_add_nc_u64 s[28:29], s[2:3], s[28:29]
	s_mul_hi_u32 s21, s23, s26
	s_mul_hi_u32 s31, s23, s27
	s_add_co_u32 s2, s28, s30
	s_wait_alu 0xfffe
	s_add_co_ci_u32 s2, s29, s21
	s_mul_i32 s26, s23, s27
	s_add_co_ci_u32 s27, s31, 0
	s_wait_alu 0xfffe
	s_add_nc_u64 s[26:27], s[2:3], s[26:27]
	s_wait_alu 0xfffe
	v_add_co_u32 v4, s2, s22, s26
	s_delay_alu instid0(VALU_DEP_1) | instskip(SKIP_1) | instid1(VALU_DEP_1)
	s_cmp_lg_u32 s2, 0
	s_add_co_ci_u32 s23, s23, s27
	v_readfirstlane_b32 s22, v4
	s_wait_alu 0xfffe
	s_delay_alu instid0(VALU_DEP_1)
	s_mul_u64 s[24:25], s[24:25], s[22:23]
	s_wait_alu 0xfffe
	s_mul_hi_u32 s27, s22, s25
	s_mul_i32 s26, s22, s25
	s_mul_hi_u32 s2, s22, s24
	s_mul_i32 s28, s23, s24
	s_wait_alu 0xfffe
	s_add_nc_u64 s[26:27], s[2:3], s[26:27]
	s_mul_hi_u32 s21, s23, s24
	s_mul_hi_u32 s22, s23, s25
	s_wait_alu 0xfffe
	s_add_co_u32 s2, s26, s28
	s_add_co_ci_u32 s2, s27, s21
	s_mul_i32 s24, s23, s25
	s_add_co_ci_u32 s25, s22, 0
	s_wait_alu 0xfffe
	s_add_nc_u64 s[24:25], s[2:3], s[24:25]
	s_wait_alu 0xfffe
	v_add_co_u32 v4, s2, v4, s24
	s_delay_alu instid0(VALU_DEP_1) | instskip(SKIP_1) | instid1(VALU_DEP_1)
	s_cmp_lg_u32 s2, 0
	s_add_co_ci_u32 s2, s23, s25
	v_mul_hi_u32 v14, v5, v4
	s_wait_alu 0xfffe
	v_mad_co_u64_u32 v[8:9], null, v5, s2, 0
	v_mad_co_u64_u32 v[10:11], null, v6, v4, 0
	;; [unrolled: 1-line block ×3, first 2 shown]
	s_delay_alu instid0(VALU_DEP_3) | instskip(SKIP_1) | instid1(VALU_DEP_4)
	v_add_co_u32 v4, vcc_lo, v14, v8
	s_wait_alu 0xfffd
	v_add_co_ci_u32_e32 v8, vcc_lo, 0, v9, vcc_lo
	s_delay_alu instid0(VALU_DEP_2) | instskip(SKIP_1) | instid1(VALU_DEP_2)
	v_add_co_u32 v4, vcc_lo, v4, v10
	s_wait_alu 0xfffd
	v_add_co_ci_u32_e32 v4, vcc_lo, v8, v11, vcc_lo
	s_wait_alu 0xfffd
	v_add_co_ci_u32_e32 v8, vcc_lo, 0, v13, vcc_lo
	s_delay_alu instid0(VALU_DEP_2) | instskip(SKIP_1) | instid1(VALU_DEP_2)
	v_add_co_u32 v4, vcc_lo, v4, v12
	s_wait_alu 0xfffd
	v_add_co_ci_u32_e32 v10, vcc_lo, 0, v8, vcc_lo
	s_delay_alu instid0(VALU_DEP_2) | instskip(SKIP_1) | instid1(VALU_DEP_3)
	v_mul_lo_u32 v11, s19, v4
	v_mad_co_u64_u32 v[8:9], null, s18, v4, 0
	v_mul_lo_u32 v12, s18, v10
	s_delay_alu instid0(VALU_DEP_2) | instskip(NEXT) | instid1(VALU_DEP_2)
	v_sub_co_u32 v8, vcc_lo, v5, v8
	v_add3_u32 v9, v9, v12, v11
	s_delay_alu instid0(VALU_DEP_1) | instskip(SKIP_1) | instid1(VALU_DEP_1)
	v_sub_nc_u32_e32 v11, v6, v9
	s_wait_alu 0xfffd
	v_subrev_co_ci_u32_e64 v11, s2, s19, v11, vcc_lo
	v_add_co_u32 v12, s2, v4, 2
	s_wait_alu 0xf1ff
	v_add_co_ci_u32_e64 v13, s2, 0, v10, s2
	v_sub_co_u32 v14, s2, v8, s18
	v_sub_co_ci_u32_e32 v9, vcc_lo, v6, v9, vcc_lo
	s_wait_alu 0xf1ff
	v_subrev_co_ci_u32_e64 v11, s2, 0, v11, s2
	s_delay_alu instid0(VALU_DEP_3) | instskip(NEXT) | instid1(VALU_DEP_3)
	v_cmp_le_u32_e32 vcc_lo, s18, v14
	v_cmp_eq_u32_e64 s2, s19, v9
	s_wait_alu 0xfffd
	v_cndmask_b32_e64 v14, 0, -1, vcc_lo
	v_cmp_le_u32_e32 vcc_lo, s19, v11
	s_wait_alu 0xfffd
	v_cndmask_b32_e64 v15, 0, -1, vcc_lo
	v_cmp_le_u32_e32 vcc_lo, s18, v8
	;; [unrolled: 3-line block ×3, first 2 shown]
	s_wait_alu 0xfffd
	v_cndmask_b32_e64 v16, 0, -1, vcc_lo
	v_cmp_eq_u32_e32 vcc_lo, s19, v11
	s_wait_alu 0xf1ff
	s_delay_alu instid0(VALU_DEP_2)
	v_cndmask_b32_e64 v8, v16, v8, s2
	s_wait_alu 0xfffd
	v_cndmask_b32_e32 v11, v15, v14, vcc_lo
	v_add_co_u32 v14, vcc_lo, v4, 1
	s_wait_alu 0xfffd
	v_add_co_ci_u32_e32 v15, vcc_lo, 0, v10, vcc_lo
	s_delay_alu instid0(VALU_DEP_3) | instskip(SKIP_1) | instid1(VALU_DEP_2)
	v_cmp_ne_u32_e32 vcc_lo, 0, v11
	s_wait_alu 0xfffd
	v_cndmask_b32_e32 v9, v15, v13, vcc_lo
	v_cndmask_b32_e32 v11, v14, v12, vcc_lo
	v_cmp_ne_u32_e32 vcc_lo, 0, v8
	s_wait_alu 0xfffd
	s_delay_alu instid0(VALU_DEP_2)
	v_dual_cndmask_b32 v10, v10, v9 :: v_dual_cndmask_b32 v9, v4, v11
.LBB0_4:                                ;   in Loop: Header=BB0_2 Depth=1
	s_wait_alu 0xfffe
	s_and_not1_saveexec_b32 s2, s20
	s_cbranch_execz .LBB0_6
; %bb.5:                                ;   in Loop: Header=BB0_2 Depth=1
	v_cvt_f32_u32_e32 v4, s18
	s_sub_co_i32 s20, 0, s18
	s_delay_alu instid0(VALU_DEP_1) | instskip(NEXT) | instid1(TRANS32_DEP_1)
	v_rcp_iflag_f32_e32 v4, v4
	v_mul_f32_e32 v4, 0x4f7ffffe, v4
	s_delay_alu instid0(VALU_DEP_1) | instskip(SKIP_1) | instid1(VALU_DEP_1)
	v_cvt_u32_f32_e32 v4, v4
	s_wait_alu 0xfffe
	v_mul_lo_u32 v8, s20, v4
	s_delay_alu instid0(VALU_DEP_1) | instskip(NEXT) | instid1(VALU_DEP_1)
	v_mul_hi_u32 v8, v4, v8
	v_add_nc_u32_e32 v4, v4, v8
	s_delay_alu instid0(VALU_DEP_1) | instskip(NEXT) | instid1(VALU_DEP_1)
	v_mul_hi_u32 v4, v5, v4
	v_mul_lo_u32 v8, v4, s18
	s_delay_alu instid0(VALU_DEP_1) | instskip(NEXT) | instid1(VALU_DEP_1)
	v_sub_nc_u32_e32 v8, v5, v8
	v_subrev_nc_u32_e32 v10, s18, v8
	v_cmp_le_u32_e32 vcc_lo, s18, v8
	s_wait_alu 0xfffd
	s_delay_alu instid0(VALU_DEP_2) | instskip(NEXT) | instid1(VALU_DEP_1)
	v_dual_cndmask_b32 v8, v8, v10 :: v_dual_add_nc_u32 v9, 1, v4
	v_cndmask_b32_e32 v4, v4, v9, vcc_lo
	v_mov_b32_e32 v10, v3
	s_delay_alu instid0(VALU_DEP_3) | instskip(NEXT) | instid1(VALU_DEP_3)
	v_cmp_le_u32_e32 vcc_lo, s18, v8
	v_add_nc_u32_e32 v9, 1, v4
	s_wait_alu 0xfffd
	s_delay_alu instid0(VALU_DEP_1)
	v_cndmask_b32_e32 v9, v4, v9, vcc_lo
.LBB0_6:                                ;   in Loop: Header=BB0_2 Depth=1
	s_wait_alu 0xfffe
	s_or_b32 exec_lo, exec_lo, s2
	s_load_b64 s[20:21], s[12:13], 0x0
	v_mul_lo_u32 v4, v10, s18
	v_mul_lo_u32 v8, v9, s19
	v_mad_co_u64_u32 v[11:12], null, v9, s18, 0
	s_add_nc_u64 s[14:15], s[14:15], 1
	s_add_nc_u64 s[12:13], s[12:13], 8
	s_wait_alu 0xfffe
	v_cmp_ge_u64_e64 s2, s[14:15], s[6:7]
	s_add_nc_u64 s[16:17], s[16:17], 8
	s_delay_alu instid0(VALU_DEP_2) | instskip(NEXT) | instid1(VALU_DEP_3)
	v_add3_u32 v4, v12, v8, v4
	v_sub_co_u32 v5, vcc_lo, v5, v11
	s_wait_alu 0xfffd
	s_delay_alu instid0(VALU_DEP_2) | instskip(SKIP_3) | instid1(VALU_DEP_2)
	v_sub_co_ci_u32_e32 v4, vcc_lo, v6, v4, vcc_lo
	s_and_b32 vcc_lo, exec_lo, s2
	s_wait_kmcnt 0x0
	v_mul_lo_u32 v6, s21, v5
	v_mul_lo_u32 v4, s20, v4
	v_mad_co_u64_u32 v[1:2], null, s20, v5, v[1:2]
	s_delay_alu instid0(VALU_DEP_1)
	v_add3_u32 v2, v6, v2, v4
	s_wait_alu 0xfffe
	s_cbranch_vccnz .LBB0_9
; %bb.7:                                ;   in Loop: Header=BB0_2 Depth=1
	v_dual_mov_b32 v5, v9 :: v_dual_mov_b32 v6, v10
	s_branch .LBB0_2
.LBB0_8:
	v_dual_mov_b32 v10, v6 :: v_dual_mov_b32 v9, v5
.LBB0_9:
	s_lshl_b64 s[2:3], s[6:7], 3
	v_mul_u32_u24_e32 v5, 0xc1, v7
	s_wait_alu 0xfffe
	s_add_nc_u64 s[2:3], s[10:11], s[2:3]
	v_and_b32_e32 v8, 15, v0
	s_load_b64 s[2:3], s[2:3], 0x0
	s_load_b64 s[0:1], s[0:1], 0x20
	v_lshlrev_b32_e32 v15, 4, v5
	s_wait_kmcnt 0x0
	v_mul_lo_u32 v3, s2, v10
	v_mul_lo_u32 v4, s3, v9
	v_mad_co_u64_u32 v[1:2], null, s2, v9, v[1:2]
	v_cmp_gt_u64_e32 vcc_lo, s[0:1], v[9:10]
	s_delay_alu instid0(VALU_DEP_2) | instskip(SKIP_1) | instid1(VALU_DEP_2)
	v_add3_u32 v2, v4, v2, v3
	v_mov_b32_e32 v4, v8
	v_lshlrev_b64_e32 v[6:7], 4, v[1:2]
	s_and_saveexec_b32 s1, vcc_lo
	s_cbranch_execz .LBB0_13
; %bb.10:
	v_lshlrev_b32_e32 v4, 4, v8
	s_delay_alu instid0(VALU_DEP_2) | instskip(SKIP_3) | instid1(VALU_DEP_2)
	v_add_co_u32 v0, s0, s8, v6
	s_wait_alu 0xf1ff
	v_add_co_ci_u32_e64 v1, s0, s9, v7, s0
	s_mov_b32 s2, exec_lo
	v_add_co_u32 v2, s0, v0, v4
	s_wait_alu 0xf1ff
	s_delay_alu instid0(VALU_DEP_2)
	v_add_co_ci_u32_e64 v3, s0, 0, v1, s0
	s_clause 0xb
	global_load_b128 v[9:12], v[2:3], off
	global_load_b128 v[16:19], v[2:3], off offset:256
	global_load_b128 v[20:23], v[2:3], off offset:512
	;; [unrolled: 1-line block ×11, first 2 shown]
	s_wait_loadcnt 0xb
	v_dual_mov_b32 v2, v8 :: v_dual_mov_b32 v3, v9
	v_add3_u32 v4, 0, v15, v4
	ds_store_b128 v4, v[9:12]
	s_wait_loadcnt 0xa
	ds_store_b128 v4, v[16:19] offset:256
	s_wait_loadcnt 0x9
	ds_store_b128 v4, v[20:23] offset:512
	;; [unrolled: 2-line block ×11, first 2 shown]
	v_cmpx_eq_u32_e32 15, v8
	s_cbranch_execz .LBB0_12
; %bb.11:
	global_load_b128 v[9:12], v[0:1], off offset:3072
	v_mov_b32_e32 v2, 15
	v_dual_mov_b32 v3, 0 :: v_dual_mov_b32 v8, 15
	s_wait_loadcnt 0x0
	ds_store_b128 v4, v[9:12] offset:2832
.LBB0_12:
	s_wait_alu 0xfffe
	s_or_b32 exec_lo, exec_lo, s2
	v_dual_mov_b32 v4, v8 :: v_dual_mov_b32 v9, v3
	v_mov_b32_e32 v8, v2
.LBB0_13:
	s_wait_alu 0xfffe
	s_or_b32 exec_lo, exec_lo, s1
	v_lshl_add_u32 v13, v5, 4, 0
	v_lshlrev_b32_e32 v14, 4, v4
	global_wb scope:SCOPE_SE
	s_wait_dscnt 0x0
	s_barrier_signal -1
	s_barrier_wait -1
	global_inv scope:SCOPE_SE
	v_add_nc_u32_e32 v5, v13, v14
	v_sub_nc_u32_e32 v16, v13, v14
	v_cmp_ne_u32_e64 s0, 0, v4
	v_lshlrev_b32_e32 v8, 4, v8
	ds_load_b64 v[9:10], v5
	ds_load_b64 v[11:12], v16 offset:3072
	s_wait_dscnt 0x0
	v_add_f64_e32 v[0:1], v[9:10], v[11:12]
	v_add_f64_e64 v[2:3], v[9:10], -v[11:12]
	s_and_saveexec_b32 s1, s0
	s_wait_alu 0xfffe
	s_xor_b32 s0, exec_lo, s1
	s_cbranch_execz .LBB0_15
; %bb.14:
	global_load_b128 v[17:20], v8, s[4:5] offset:2976
	ds_load_b64 v[0:1], v16 offset:3080
	ds_load_b64 v[2:3], v5 offset:8
	v_add_f64_e32 v[21:22], v[9:10], v[11:12]
	v_add_f64_e64 v[23:24], v[9:10], -v[11:12]
	s_wait_dscnt 0x0
	v_add_f64_e32 v[9:10], v[0:1], v[2:3]
	v_add_f64_e64 v[0:1], v[2:3], -v[0:1]
	s_wait_loadcnt 0x0
	s_delay_alu instid0(VALU_DEP_3) | instskip(SKIP_1) | instid1(VALU_DEP_3)
	v_fma_f64 v[2:3], v[23:24], v[19:20], v[21:22]
	v_fma_f64 v[11:12], -v[23:24], v[19:20], v[21:22]
	v_fma_f64 v[21:22], v[9:10], v[19:20], -v[0:1]
	v_fma_f64 v[19:20], v[9:10], v[19:20], v[0:1]
	s_delay_alu instid0(VALU_DEP_4) | instskip(NEXT) | instid1(VALU_DEP_4)
	v_fma_f64 v[0:1], -v[9:10], v[17:18], v[2:3]
	v_fma_f64 v[9:10], v[9:10], v[17:18], v[11:12]
	s_delay_alu instid0(VALU_DEP_4) | instskip(NEXT) | instid1(VALU_DEP_4)
	v_fma_f64 v[11:12], v[23:24], v[17:18], v[21:22]
	v_fma_f64 v[2:3], v[23:24], v[17:18], v[19:20]
	ds_store_b128 v16, v[9:12] offset:3072
.LBB0_15:
	s_wait_alu 0xfffe
	s_and_not1_saveexec_b32 s0, s0
	s_cbranch_execz .LBB0_17
; %bb.16:
	ds_load_b128 v[9:12], v13 offset:1536
	s_wait_dscnt 0x0
	v_add_f64_e32 v[9:10], v[9:10], v[9:10]
	v_mul_f64_e32 v[11:12], -2.0, v[11:12]
	ds_store_b128 v13, v[9:12] offset:1536
.LBB0_17:
	s_wait_alu 0xfffe
	s_or_b32 exec_lo, exec_lo, s0
	s_add_nc_u64 s[0:1], s[4:5], 0xba0
	s_mov_b32 s3, 0xbfebb67a
	s_clause 0x1
	global_load_b128 v[9:12], v14, s[0:1] offset:256
	global_load_b128 v[17:20], v14, s[0:1] offset:512
	ds_store_b128 v5, v[0:3]
	ds_load_b128 v[0:3], v5 offset:256
	ds_load_b128 v[21:24], v16 offset:2816
	global_load_b128 v[25:28], v14, s[0:1] offset:768
	s_wait_dscnt 0x0
	v_add_f64_e32 v[29:30], v[0:1], v[21:22]
	v_add_f64_e32 v[31:32], v[23:24], v[2:3]
	v_add_f64_e64 v[33:34], v[0:1], -v[21:22]
	v_add_f64_e64 v[0:1], v[2:3], -v[23:24]
	s_wait_loadcnt 0x2
	s_delay_alu instid0(VALU_DEP_2) | instskip(NEXT) | instid1(VALU_DEP_2)
	v_fma_f64 v[2:3], v[33:34], v[11:12], v[29:30]
	v_fma_f64 v[21:22], v[31:32], v[11:12], v[0:1]
	v_fma_f64 v[23:24], -v[33:34], v[11:12], v[29:30]
	v_fma_f64 v[11:12], v[31:32], v[11:12], -v[0:1]
	s_delay_alu instid0(VALU_DEP_4) | instskip(NEXT) | instid1(VALU_DEP_4)
	v_fma_f64 v[0:1], -v[31:32], v[9:10], v[2:3]
	v_fma_f64 v[2:3], v[33:34], v[9:10], v[21:22]
	s_delay_alu instid0(VALU_DEP_4) | instskip(NEXT) | instid1(VALU_DEP_4)
	v_fma_f64 v[21:22], v[31:32], v[9:10], v[23:24]
	v_fma_f64 v[23:24], v[33:34], v[9:10], v[11:12]
	ds_store_b128 v5, v[0:3] offset:256
	ds_store_b128 v16, v[21:24] offset:2816
	ds_load_b128 v[0:3], v5 offset:512
	ds_load_b128 v[9:12], v16 offset:2560
	global_load_b128 v[21:24], v14, s[0:1] offset:1024
	s_wait_dscnt 0x0
	v_add_f64_e32 v[29:30], v[0:1], v[9:10]
	v_add_f64_e32 v[31:32], v[11:12], v[2:3]
	v_add_f64_e64 v[33:34], v[0:1], -v[9:10]
	v_add_f64_e64 v[0:1], v[2:3], -v[11:12]
	s_wait_loadcnt 0x2
	s_delay_alu instid0(VALU_DEP_2) | instskip(NEXT) | instid1(VALU_DEP_2)
	v_fma_f64 v[2:3], v[33:34], v[19:20], v[29:30]
	v_fma_f64 v[9:10], v[31:32], v[19:20], v[0:1]
	v_fma_f64 v[11:12], -v[33:34], v[19:20], v[29:30]
	v_fma_f64 v[19:20], v[31:32], v[19:20], -v[0:1]
	s_delay_alu instid0(VALU_DEP_4) | instskip(NEXT) | instid1(VALU_DEP_4)
	v_fma_f64 v[0:1], -v[31:32], v[17:18], v[2:3]
	v_fma_f64 v[2:3], v[33:34], v[17:18], v[9:10]
	s_delay_alu instid0(VALU_DEP_4) | instskip(NEXT) | instid1(VALU_DEP_4)
	v_fma_f64 v[9:10], v[31:32], v[17:18], v[11:12]
	v_fma_f64 v[11:12], v[33:34], v[17:18], v[19:20]
	ds_store_b128 v5, v[0:3] offset:512
	ds_store_b128 v16, v[9:12] offset:2560
	ds_load_b128 v[0:3], v5 offset:768
	ds_load_b128 v[9:12], v16 offset:2304
	global_load_b128 v[17:20], v14, s[0:1] offset:1280
	s_mov_b32 s0, 0xe8584caa
	s_mov_b32 s1, 0x3febb67a
	s_wait_alu 0xfffe
	s_mov_b32 s2, s0
	s_wait_dscnt 0x0
	v_add_f64_e32 v[29:30], v[0:1], v[9:10]
	v_add_f64_e32 v[31:32], v[11:12], v[2:3]
	v_add_f64_e64 v[33:34], v[0:1], -v[9:10]
	v_add_f64_e64 v[0:1], v[2:3], -v[11:12]
	s_wait_loadcnt 0x2
	s_delay_alu instid0(VALU_DEP_2) | instskip(NEXT) | instid1(VALU_DEP_2)
	v_fma_f64 v[2:3], v[33:34], v[27:28], v[29:30]
	v_fma_f64 v[9:10], v[31:32], v[27:28], v[0:1]
	v_fma_f64 v[11:12], -v[33:34], v[27:28], v[29:30]
	v_fma_f64 v[27:28], v[31:32], v[27:28], -v[0:1]
	s_delay_alu instid0(VALU_DEP_4) | instskip(NEXT) | instid1(VALU_DEP_4)
	v_fma_f64 v[0:1], -v[31:32], v[25:26], v[2:3]
	v_fma_f64 v[2:3], v[33:34], v[25:26], v[9:10]
	s_delay_alu instid0(VALU_DEP_4) | instskip(NEXT) | instid1(VALU_DEP_4)
	v_fma_f64 v[9:10], v[31:32], v[25:26], v[11:12]
	v_fma_f64 v[11:12], v[33:34], v[25:26], v[27:28]
	ds_store_b128 v5, v[0:3] offset:768
	ds_store_b128 v16, v[9:12] offset:2304
	ds_load_b128 v[0:3], v5 offset:1024
	ds_load_b128 v[9:12], v16 offset:2048
	s_wait_dscnt 0x0
	v_add_f64_e32 v[25:26], v[0:1], v[9:10]
	v_add_f64_e32 v[27:28], v[11:12], v[2:3]
	v_add_f64_e64 v[29:30], v[0:1], -v[9:10]
	v_add_f64_e64 v[0:1], v[2:3], -v[11:12]
	s_wait_loadcnt 0x1
	s_delay_alu instid0(VALU_DEP_2) | instskip(NEXT) | instid1(VALU_DEP_2)
	v_fma_f64 v[2:3], v[29:30], v[23:24], v[25:26]
	v_fma_f64 v[9:10], v[27:28], v[23:24], v[0:1]
	v_fma_f64 v[11:12], -v[29:30], v[23:24], v[25:26]
	v_fma_f64 v[23:24], v[27:28], v[23:24], -v[0:1]
	s_delay_alu instid0(VALU_DEP_4) | instskip(NEXT) | instid1(VALU_DEP_4)
	v_fma_f64 v[0:1], -v[27:28], v[21:22], v[2:3]
	v_fma_f64 v[2:3], v[29:30], v[21:22], v[9:10]
	s_delay_alu instid0(VALU_DEP_4) | instskip(NEXT) | instid1(VALU_DEP_4)
	v_fma_f64 v[9:10], v[27:28], v[21:22], v[11:12]
	v_fma_f64 v[11:12], v[29:30], v[21:22], v[23:24]
	ds_store_b128 v5, v[0:3] offset:1024
	ds_store_b128 v16, v[9:12] offset:2048
	ds_load_b128 v[0:3], v5 offset:1280
	ds_load_b128 v[9:12], v16 offset:1792
	s_wait_dscnt 0x0
	v_add_f64_e32 v[21:22], v[0:1], v[9:10]
	v_add_f64_e32 v[23:24], v[11:12], v[2:3]
	v_add_f64_e64 v[0:1], v[0:1], -v[9:10]
	v_add_f64_e64 v[2:3], v[2:3], -v[11:12]
	s_wait_loadcnt 0x0
	s_delay_alu instid0(VALU_DEP_2) | instskip(NEXT) | instid1(VALU_DEP_2)
	v_fma_f64 v[9:10], v[0:1], v[19:20], v[21:22]
	v_fma_f64 v[11:12], v[23:24], v[19:20], v[2:3]
	v_fma_f64 v[21:22], -v[0:1], v[19:20], v[21:22]
	v_fma_f64 v[2:3], v[23:24], v[19:20], -v[2:3]
	s_delay_alu instid0(VALU_DEP_4) | instskip(NEXT) | instid1(VALU_DEP_4)
	v_fma_f64 v[9:10], -v[23:24], v[17:18], v[9:10]
	v_fma_f64 v[11:12], v[0:1], v[17:18], v[11:12]
	s_delay_alu instid0(VALU_DEP_4) | instskip(NEXT) | instid1(VALU_DEP_4)
	v_fma_f64 v[19:20], v[23:24], v[17:18], v[21:22]
	v_fma_f64 v[21:22], v[0:1], v[17:18], v[2:3]
	v_add3_u32 v2, 0, v14, v15
	v_mul_lo_u16 v3, v4, 43
	ds_store_b128 v5, v[9:12] offset:1280
	ds_store_b128 v16, v[19:22] offset:1792
	global_wb scope:SCOPE_SE
	s_wait_dscnt 0x0
	s_barrier_signal -1
	s_barrier_wait -1
	global_inv scope:SCOPE_SE
	global_wb scope:SCOPE_SE
	s_barrier_signal -1
	s_barrier_wait -1
	global_inv scope:SCOPE_SE
	ds_load_b128 v[9:12], v2 offset:2560
	ds_load_b128 v[16:19], v2 offset:1536
	;; [unrolled: 1-line block ×6, first 2 shown]
	s_wait_dscnt 0x4
	v_add_f64_e32 v[0:1], v[18:19], v[11:12]
	v_add_f64_e32 v[36:37], v[16:17], v[9:10]
	s_wait_dscnt 0x2
	v_add_f64_e32 v[38:39], v[22:23], v[26:27]
	v_add_f64_e32 v[40:41], v[20:21], v[24:25]
	v_add_f64_e64 v[52:53], v[18:19], -v[11:12]
	v_add_f64_e64 v[54:55], v[16:17], -v[9:10]
	;; [unrolled: 1-line block ×4, first 2 shown]
	s_wait_dscnt 0x1
	v_add_f64_e32 v[16:17], v[28:29], v[16:17]
	v_add_f64_e32 v[18:19], v[30:31], v[18:19]
	s_wait_dscnt 0x0
	v_add_f64_e32 v[20:21], v[32:33], v[20:21]
	v_add_f64_e32 v[22:23], v[34:35], v[22:23]
	v_fma_f64 v[0:1], v[0:1], -0.5, v[30:31]
	v_fma_f64 v[56:57], v[36:37], -0.5, v[28:29]
	;; [unrolled: 1-line block ×4, first 2 shown]
	ds_load_b128 v[36:39], v2 offset:2048
	ds_load_b128 v[40:43], v2 offset:1024
	;; [unrolled: 1-line block ×4, first 2 shown]
	v_add_f64_e32 v[16:17], v[16:17], v[9:10]
	v_add_f64_e32 v[18:19], v[18:19], v[11:12]
	;; [unrolled: 1-line block ×4, first 2 shown]
	s_wait_dscnt 0x2
	v_add_f64_e32 v[68:69], v[40:41], v[36:37]
	v_add_f64_e32 v[70:71], v[42:43], v[38:39]
	s_wait_dscnt 0x0
	v_add_f64_e32 v[78:79], v[44:45], v[48:49]
	v_add_f64_e32 v[80:81], v[46:47], v[50:51]
	v_add_f64_e64 v[34:35], v[40:41], -v[36:37]
	s_wait_alu 0xfffe
	v_fma_f64 v[72:73], v[54:55], s[2:3], v[0:1]
	v_fma_f64 v[76:77], v[52:53], s[0:1], v[56:57]
	;; [unrolled: 1-line block ×8, first 2 shown]
	ds_load_b128 v[52:55], v5
	ds_load_b128 v[56:59], v2 offset:256
	v_add_f64_e64 v[66:67], v[42:43], -v[38:39]
	global_wb scope:SCOPE_SE
	s_wait_dscnt 0x0
	s_barrier_signal -1
	s_barrier_wait -1
	global_inv scope:SCOPE_SE
	v_add_f64_e32 v[64:65], v[52:53], v[40:41]
	v_add_f64_e32 v[42:43], v[54:55], v[42:43]
	;; [unrolled: 1-line block ×4, first 2 shown]
	v_fma_f64 v[32:33], v[68:69], -0.5, v[52:53]
	v_fma_f64 v[40:41], v[70:71], -0.5, v[54:55]
	v_add_f64_e64 v[46:47], v[46:47], -v[50:51]
	v_fma_f64 v[56:57], v[78:79], -0.5, v[56:57]
	v_add_f64_e64 v[44:45], v[44:45], -v[48:49]
	v_fma_f64 v[58:59], v[80:81], -0.5, v[58:59]
	v_mul_f64_e32 v[52:53], s[0:1], v[72:73]
	v_mul_f64_e32 v[68:69], s[2:3], v[76:77]
	v_mul_f64_e32 v[54:55], -0.5, v[74:75]
	v_mul_f64_e32 v[70:71], -0.5, v[0:1]
	v_mul_f64_e32 v[78:79], s[0:1], v[82:83]
	v_mul_f64_e32 v[80:81], -0.5, v[84:85]
	v_mul_f64_e32 v[86:87], s[2:3], v[60:61]
	v_mul_f64_e32 v[88:89], -0.5, v[62:63]
	v_add_f64_e32 v[36:37], v[64:65], v[36:37]
	v_add_f64_e32 v[38:39], v[42:43], v[38:39]
	;; [unrolled: 1-line block ×4, first 2 shown]
	v_fma_f64 v[42:43], v[66:67], s[0:1], v[32:33]
	v_fma_f64 v[50:51], v[34:35], s[2:3], v[40:41]
	v_fma_f64 v[64:65], v[34:35], s[0:1], v[40:41]
	v_fma_f64 v[48:49], v[66:67], s[2:3], v[32:33]
	v_fma_f64 v[66:67], v[46:47], s[0:1], v[56:57]
	v_fma_f64 v[56:57], v[46:47], s[2:3], v[56:57]
	v_fma_f64 v[40:41], v[76:77], 0.5, v[52:53]
	v_fma_f64 v[52:53], v[72:73], 0.5, v[68:69]
	v_fma_f64 v[0:1], v[0:1], s[0:1], v[54:55]
	v_fma_f64 v[54:55], v[74:75], s[2:3], v[70:71]
	;; [unrolled: 1-line block ×3, first 2 shown]
	v_fma_f64 v[60:61], v[60:61], 0.5, v[78:79]
	v_fma_f64 v[70:71], v[82:83], 0.5, v[86:87]
	v_fma_f64 v[58:59], v[44:45], s[0:1], v[58:59]
	v_fma_f64 v[62:63], v[62:63], s[0:1], v[80:81]
	;; [unrolled: 1-line block ×3, first 2 shown]
	v_lshrrev_b16 v84, 8, v3
	v_add_f64_e32 v[9:10], v[36:37], v[16:17]
	v_add_f64_e32 v[11:12], v[38:39], v[18:19]
	v_add_f64_e32 v[20:21], v[28:29], v[24:25]
	v_add_f64_e32 v[22:23], v[30:31], v[26:27]
	v_add_f64_e64 v[24:25], v[28:29], -v[24:25]
	v_add_f64_e64 v[26:27], v[30:31], -v[26:27]
	v_add_f64_e64 v[16:17], v[36:37], -v[16:17]
	v_add_f64_e64 v[18:19], v[38:39], -v[18:19]
	v_add_f64_e32 v[28:29], v[42:43], v[40:41]
	v_add_f64_e32 v[30:31], v[50:51], v[52:53]
	v_add_f64_e32 v[32:33], v[48:49], v[0:1]
	v_add_f64_e32 v[34:35], v[64:65], v[54:55]
	v_add_f64_e64 v[36:37], v[42:43], -v[40:41]
	v_add_f64_e64 v[38:39], v[50:51], -v[52:53]
	v_add_f64_e64 v[40:41], v[48:49], -v[0:1]
	v_add_f64_e64 v[42:43], v[64:65], -v[54:55]
	;; [unrolled: 8-line block ×3, first 2 shown]
	v_mul_lo_u16 v0, v84, 6
	v_mad_u32_u24 v1, 0x50, v4, v2
	ds_store_b128 v1, v[9:12]
	ds_store_b128 v1, v[28:31] offset:16
	ds_store_b128 v1, v[32:35] offset:32
	;; [unrolled: 1-line block ×11, first 2 shown]
	v_sub_nc_u16 v85, v4, v0
	v_or_b32_e32 v9, 16, v4
	global_wb scope:SCOPE_SE
	s_wait_dscnt 0x0
	s_barrier_signal -1
	s_barrier_wait -1
	v_mul_lo_u16 v0, v85, 3
	global_inv scope:SCOPE_SE
	v_mul_lo_u16 v3, v9, 43
	v_cmp_gt_u32_e64 s0, 24, v9
	v_and_b32_e32 v0, 0xff, v0
	s_delay_alu instid0(VALU_DEP_3) | instskip(NEXT) | instid1(VALU_DEP_2)
	v_lshrrev_b16 v12, 8, v3
	v_lshlrev_b32_e32 v0, 4, v0
	s_delay_alu instid0(VALU_DEP_2)
	v_mul_lo_u16 v3, v12, 6
	s_clause 0x1
	global_load_b128 v[16:19], v0, s[4:5]
	global_load_b128 v[20:23], v0, s[4:5] offset:16
	v_sub_nc_u16 v86, v9, v3
	global_load_b128 v[24:27], v0, s[4:5] offset:32
	v_mul_lo_u16 v3, v86, 3
	s_delay_alu instid0(VALU_DEP_1) | instskip(SKIP_1) | instid1(VALU_DEP_2)
	v_and_b32_e32 v0, 0xff, v3
	v_or_b32_e32 v3, 32, v4
	v_lshlrev_b32_e32 v0, 4, v0
	s_delay_alu instid0(VALU_DEP_2) | instskip(SKIP_4) | instid1(VALU_DEP_1)
	v_mul_lo_u16 v10, v3, 43
	s_clause 0x1
	global_load_b128 v[28:31], v0, s[4:5]
	global_load_b128 v[32:35], v0, s[4:5] offset:16
	v_lshrrev_b16 v87, 8, v10
	v_mul_lo_u16 v10, v87, 6
	s_delay_alu instid0(VALU_DEP_1) | instskip(NEXT) | instid1(VALU_DEP_1)
	v_sub_nc_u16 v88, v3, v10
	v_mul_lo_u16 v3, v88, 3
	s_delay_alu instid0(VALU_DEP_1) | instskip(NEXT) | instid1(VALU_DEP_1)
	v_and_b32_e32 v3, 0xff, v3
	v_lshlrev_b32_e32 v3, 4, v3
	s_clause 0x3
	global_load_b128 v[36:39], v0, s[4:5] offset:32
	global_load_b128 v[40:43], v3, s[4:5]
	global_load_b128 v[44:47], v3, s[4:5] offset:16
	global_load_b128 v[48:51], v3, s[4:5] offset:32
	v_mad_i32_i24 v3, 0xffffffb0, v4, v1
	ds_load_b128 v[52:55], v3 offset:768
	ds_load_b128 v[56:59], v2 offset:1536
	;; [unrolled: 1-line block ×7, first 2 shown]
	s_wait_loadcnt_dscnt 0x806
	v_mul_f64_e32 v[0:1], v[54:55], v[18:19]
	v_mul_f64_e32 v[10:11], v[52:53], v[18:19]
	s_wait_loadcnt_dscnt 0x705
	v_mul_f64_e32 v[80:81], v[58:59], v[22:23]
	v_mul_f64_e32 v[22:23], v[56:57], v[22:23]
	;; [unrolled: 3-line block ×3, first 2 shown]
	v_fma_f64 v[0:1], v[52:53], v[16:17], -v[0:1]
	v_fma_f64 v[10:11], v[54:55], v[16:17], v[10:11]
	s_wait_loadcnt_dscnt 0x502
	v_mul_f64_e32 v[52:53], v[70:71], v[30:31]
	v_mul_f64_e32 v[30:31], v[68:69], v[30:31]
	v_fma_f64 v[54:55], v[56:57], v[20:21], -v[80:81]
	v_fma_f64 v[56:57], v[58:59], v[20:21], v[22:23]
	s_wait_loadcnt_dscnt 0x401
	v_mul_f64_e32 v[58:59], v[74:75], v[34:35]
	v_mul_f64_e32 v[34:35], v[72:73], v[34:35]
	ds_load_b128 v[16:19], v3 offset:1280
	ds_load_b128 v[20:23], v2 offset:2048
	v_fma_f64 v[64:65], v[64:65], v[24:25], -v[82:83]
	v_fma_f64 v[66:67], v[66:67], v[24:25], v[26:27]
	ds_load_b128 v[24:27], v2 offset:2816
	s_wait_loadcnt_dscnt 0x303
	v_mul_f64_e32 v[80:81], v[78:79], v[38:39]
	v_mul_f64_e32 v[38:39], v[76:77], v[38:39]
	v_fma_f64 v[52:53], v[68:69], v[28:29], -v[52:53]
	v_fma_f64 v[28:29], v[70:71], v[28:29], v[30:31]
	s_wait_loadcnt_dscnt 0x202
	v_mul_f64_e32 v[30:31], v[18:19], v[42:43]
	v_mul_f64_e32 v[42:43], v[16:17], v[42:43]
	s_wait_loadcnt_dscnt 0x101
	v_mul_f64_e32 v[68:69], v[22:23], v[46:47]
	v_mul_f64_e32 v[46:47], v[20:21], v[46:47]
	v_fma_f64 v[58:59], v[72:73], v[32:33], -v[58:59]
	v_fma_f64 v[32:33], v[74:75], v[32:33], v[34:35]
	s_wait_loadcnt_dscnt 0x0
	v_mul_f64_e32 v[34:35], v[26:27], v[50:51]
	v_mul_f64_e32 v[50:51], v[24:25], v[50:51]
	v_fma_f64 v[70:71], v[76:77], v[36:37], -v[80:81]
	v_fma_f64 v[36:37], v[78:79], v[36:37], v[38:39]
	v_fma_f64 v[30:31], v[16:17], v[40:41], -v[30:31]
	v_fma_f64 v[38:39], v[18:19], v[40:41], v[42:43]
	;; [unrolled: 2-line block ×3, first 2 shown]
	ds_load_b128 v[16:19], v5
	ds_load_b128 v[20:23], v3 offset:256
	global_wb scope:SCOPE_SE
	s_wait_dscnt 0x0
	v_fma_f64 v[24:25], v[24:25], v[48:49], -v[34:35]
	v_fma_f64 v[26:27], v[26:27], v[48:49], v[50:51]
	v_add_f64_e64 v[34:35], v[0:1], -v[64:65]
	v_add_f64_e64 v[48:49], v[10:11], -v[66:67]
	v_add_f64_e64 v[36:37], v[28:29], -v[36:37]
	s_barrier_signal -1
	s_barrier_wait -1
	global_inv scope:SCOPE_SE
	v_add_f64_e64 v[44:45], v[16:17], -v[54:55]
	v_add_f64_e64 v[46:47], v[18:19], -v[56:57]
	;; [unrolled: 1-line block ×9, first 2 shown]
	v_fma_f64 v[0:1], v[0:1], 2.0, -v[34:35]
	v_fma_f64 v[10:11], v[10:11], 2.0, -v[48:49]
	;; [unrolled: 1-line block ×8, first 2 shown]
	v_add_f64_e64 v[16:17], v[44:45], -v[48:49]
	v_add_f64_e64 v[20:21], v[50:51], -v[36:37]
	v_add_f64_e32 v[18:19], v[46:47], v[34:35]
	v_fma_f64 v[60:61], v[60:61], 2.0, -v[58:59]
	v_fma_f64 v[62:63], v[62:63], 2.0, -v[64:65]
	;; [unrolled: 1-line block ×4, first 2 shown]
	v_add_f64_e32 v[34:35], v[64:65], v[40:41]
	v_add_f64_e64 v[24:25], v[54:55], -v[0:1]
	v_add_f64_e64 v[26:27], v[66:67], -v[10:11]
	v_mul_lo_u16 v0, v84, 24
	v_mul_lo_u16 v1, v12, 24
	v_add_f64_e64 v[28:29], v[68:69], -v[22:23]
	v_add_f64_e64 v[30:31], v[70:71], -v[52:53]
	v_add_f64_e32 v[22:23], v[56:57], v[32:33]
	v_add_f64_e64 v[32:33], v[58:59], -v[42:43]
	v_fma_f64 v[40:41], v[44:45], 2.0, -v[16:17]
	v_fma_f64 v[44:45], v[50:51], 2.0, -v[20:21]
	;; [unrolled: 1-line block ×3, first 2 shown]
	v_mul_lo_u16 v10, v87, 24
	v_or_b32_e32 v0, v0, v85
	v_or_b32_e32 v1, v1, v86
	v_mul_u32_u24_e32 v11, 3, v4
	s_delay_alu instid0(VALU_DEP_4) | instskip(NEXT) | instid1(VALU_DEP_4)
	v_or_b32_e32 v10, v10, v88
	v_and_b32_e32 v0, 0xff, v0
	s_delay_alu instid0(VALU_DEP_4) | instskip(NEXT) | instid1(VALU_DEP_4)
	v_and_b32_e32 v1, 0xff, v1
	v_lshlrev_b32_e32 v12, 4, v11
	v_add_f64_e64 v[36:37], v[60:61], -v[72:73]
	v_add_f64_e64 v[38:39], v[62:63], -v[38:39]
	v_and_b32_e32 v10, 0xff, v10
	v_lshlrev_b32_e32 v0, 4, v0
	v_lshlrev_b32_e32 v1, 4, v1
	s_delay_alu instid0(VALU_DEP_3) | instskip(NEXT) | instid1(VALU_DEP_3)
	v_lshlrev_b32_e32 v10, 4, v10
	v_add3_u32 v0, 0, v0, v15
	s_delay_alu instid0(VALU_DEP_3) | instskip(NEXT) | instid1(VALU_DEP_3)
	v_add3_u32 v1, 0, v1, v15
	v_add3_u32 v10, 0, v10, v15
	v_fma_f64 v[48:49], v[54:55], 2.0, -v[24:25]
	v_fma_f64 v[50:51], v[66:67], 2.0, -v[26:27]
	;; [unrolled: 1-line block ×9, first 2 shown]
	ds_store_b128 v0, v[24:27] offset:192
	ds_store_b128 v0, v[16:19] offset:288
	ds_store_b128 v0, v[48:51]
	ds_store_b128 v0, v[40:43] offset:96
	ds_store_b128 v1, v[52:55]
	ds_store_b128 v1, v[44:47] offset:96
	ds_store_b128 v1, v[28:31] offset:192
	;; [unrolled: 1-line block ×3, first 2 shown]
	ds_store_b128 v10, v[60:63]
	ds_store_b128 v10, v[56:59] offset:96
	ds_store_b128 v10, v[36:39] offset:192
	;; [unrolled: 1-line block ×3, first 2 shown]
	global_wb scope:SCOPE_SE
	s_wait_dscnt 0x0
	s_barrier_signal -1
	s_barrier_wait -1
	global_inv scope:SCOPE_SE
	s_clause 0x1
	global_load_b128 v[16:19], v12, s[4:5] offset:288
	global_load_b128 v[20:23], v12, s[4:5] offset:304
	v_dual_mov_b32 v1, 0 :: v_dual_add_nc_u32 v0, -8, v4
	global_load_b128 v[24:27], v12, s[4:5] offset:320
	s_wait_alu 0xf1ff
	v_cndmask_b32_e64 v88, v0, v9, s0
	s_delay_alu instid0(VALU_DEP_1) | instskip(NEXT) | instid1(VALU_DEP_1)
	v_mul_i32_i24_e32 v0, 3, v88
	v_lshlrev_b64_e32 v[10:11], 4, v[0:1]
	s_delay_alu instid0(VALU_DEP_1) | instskip(SKIP_1) | instid1(VALU_DEP_2)
	v_add_co_u32 v10, s0, s4, v10
	s_wait_alu 0xf1ff
	v_add_co_ci_u32_e64 v11, s0, s5, v11, s0
	s_clause 0x5
	global_load_b128 v[28:31], v[10:11], off offset:288
	global_load_b128 v[32:35], v[10:11], off offset:304
	;; [unrolled: 1-line block ×3, first 2 shown]
	global_load_b128 v[40:43], v12, s[4:5] offset:672
	global_load_b128 v[44:47], v12, s[4:5] offset:688
	;; [unrolled: 1-line block ×3, first 2 shown]
	ds_load_b128 v[52:55], v3 offset:768
	ds_load_b128 v[56:59], v2 offset:1536
	;; [unrolled: 1-line block ×7, first 2 shown]
	v_cmp_lt_u32_e64 s0, 23, v9
	s_wait_alu 0xf1ff
	s_delay_alu instid0(VALU_DEP_1) | instskip(NEXT) | instid1(VALU_DEP_1)
	v_cndmask_b32_e64 v0, 0, 0x60, s0
	v_or_b32_e32 v0, v0, v88
	s_delay_alu instid0(VALU_DEP_1) | instskip(NEXT) | instid1(VALU_DEP_1)
	v_lshlrev_b32_e32 v0, 4, v0
	v_add3_u32 v0, 0, v0, v15
	s_wait_loadcnt_dscnt 0x806
	v_mul_f64_e32 v[10:11], v[54:55], v[18:19]
	v_mul_f64_e32 v[18:19], v[52:53], v[18:19]
	s_wait_loadcnt_dscnt 0x705
	v_mul_f64_e32 v[80:81], v[58:59], v[22:23]
	v_mul_f64_e32 v[22:23], v[56:57], v[22:23]
	;; [unrolled: 3-line block ×4, first 2 shown]
	v_fma_f64 v[10:11], v[52:53], v[16:17], -v[10:11]
	v_fma_f64 v[86:87], v[54:55], v[16:17], v[18:19]
	ds_load_b128 v[16:19], v2 offset:1792
	ds_load_b128 v[52:55], v2 offset:2048
	v_fma_f64 v[56:57], v[56:57], v[20:21], -v[80:81]
	v_fma_f64 v[58:59], v[58:59], v[20:21], v[22:23]
	ds_load_b128 v[20:23], v2 offset:2816
	v_fma_f64 v[64:65], v[64:65], v[24:25], -v[82:83]
	v_fma_f64 v[24:25], v[66:67], v[24:25], v[26:27]
	s_wait_loadcnt_dscnt 0x304
	v_mul_f64_e32 v[26:27], v[74:75], v[38:39]
	v_mul_f64_e32 v[38:39], v[72:73], v[38:39]
	s_wait_loadcnt_dscnt 0x203
	v_mul_f64_e32 v[66:67], v[78:79], v[42:43]
	v_mul_f64_e32 v[42:43], v[76:77], v[42:43]
	s_wait_dscnt 0x2
	v_mul_f64_e32 v[80:81], v[18:19], v[34:35]
	v_mul_f64_e32 v[34:35], v[16:17], v[34:35]
	v_fma_f64 v[68:69], v[68:69], v[28:29], -v[84:85]
	v_fma_f64 v[28:29], v[70:71], v[28:29], v[30:31]
	s_wait_loadcnt_dscnt 0x101
	v_mul_f64_e32 v[30:31], v[54:55], v[46:47]
	v_mul_f64_e32 v[46:47], v[52:53], v[46:47]
	s_wait_loadcnt_dscnt 0x0
	v_mul_f64_e32 v[70:71], v[22:23], v[50:51]
	v_mul_f64_e32 v[50:51], v[20:21], v[50:51]
	v_add_f64_e64 v[24:25], v[86:87], -v[24:25]
	v_fma_f64 v[26:27], v[72:73], v[36:37], -v[26:27]
	v_fma_f64 v[80:81], v[16:17], v[32:33], -v[80:81]
	v_fma_f64 v[32:33], v[18:19], v[32:33], v[34:35]
	v_fma_f64 v[34:35], v[74:75], v[36:37], v[38:39]
	v_fma_f64 v[36:37], v[76:77], v[40:41], -v[66:67]
	v_fma_f64 v[38:39], v[78:79], v[40:41], v[42:43]
	v_fma_f64 v[30:31], v[52:53], v[44:45], -v[30:31]
	;; [unrolled: 2-line block ×3, first 2 shown]
	v_fma_f64 v[44:45], v[22:23], v[48:49], v[50:51]
	ds_load_b128 v[16:19], v5
	ds_load_b128 v[20:23], v3 offset:256
	v_add_f64_e64 v[50:51], v[10:11], -v[64:65]
	global_wb scope:SCOPE_SE
	s_wait_dscnt 0x0
	s_barrier_signal -1
	s_barrier_wait -1
	global_inv scope:SCOPE_SE
	v_add_f64_e64 v[46:47], v[16:17], -v[56:57]
	v_add_f64_e64 v[48:49], v[18:19], -v[58:59]
	;; [unrolled: 1-line block ×10, first 2 shown]
	v_fma_f64 v[30:31], v[86:87], 2.0, -v[24:25]
	v_fma_f64 v[10:11], v[10:11], 2.0, -v[50:51]
	;; [unrolled: 1-line block ×4, first 2 shown]
	v_add_f64_e64 v[16:17], v[46:47], -v[24:25]
	v_add_f64_e32 v[18:19], v[48:49], v[50:51]
	v_fma_f64 v[70:71], v[20:21], 2.0, -v[52:53]
	v_fma_f64 v[72:73], v[22:23], 2.0, -v[56:57]
	;; [unrolled: 1-line block ×4, first 2 shown]
	v_add_f64_e64 v[20:21], v[52:53], -v[26:27]
	v_fma_f64 v[60:61], v[60:61], 2.0, -v[58:59]
	v_fma_f64 v[62:63], v[62:63], 2.0, -v[64:65]
	;; [unrolled: 1-line block ×4, first 2 shown]
	v_add_f64_e32 v[34:35], v[64:65], v[34:35]
	v_add_f64_e64 v[24:25], v[54:55], -v[10:11]
	v_add_f64_e64 v[26:27], v[66:67], -v[30:31]
	;; [unrolled: 1-line block ×4, first 2 shown]
	v_add_f64_e32 v[22:23], v[56:57], v[32:33]
	v_add_f64_e64 v[32:33], v[58:59], -v[40:41]
	v_fma_f64 v[42:43], v[48:49], 2.0, -v[18:19]
	v_fma_f64 v[40:41], v[46:47], 2.0, -v[16:17]
	v_add_f64_e64 v[36:37], v[60:61], -v[36:37]
	v_add_f64_e64 v[38:39], v[62:63], -v[38:39]
	v_fma_f64 v[44:45], v[52:53], 2.0, -v[20:21]
	v_fma_f64 v[48:49], v[54:55], 2.0, -v[24:25]
	;; [unrolled: 1-line block ×10, first 2 shown]
	ds_store_b128 v2, v[24:27] offset:768
	ds_store_b128 v2, v[16:19] offset:1152
	ds_store_b128 v2, v[48:51]
	ds_store_b128 v2, v[40:43] offset:384
	ds_store_b128 v0, v[52:55]
	ds_store_b128 v0, v[44:47] offset:384
	ds_store_b128 v0, v[28:31] offset:768
	ds_store_b128 v0, v[20:23] offset:1152
	ds_store_2addr_b64 v3, v[10:11], v[60:61] offset0:208 offset1:209
	ds_store_b128 v2, v[56:59] offset:2048
	ds_store_b128 v2, v[36:39] offset:2432
	ds_store_b128 v2, v[32:35] offset:2816
	global_wb scope:SCOPE_SE
	s_wait_dscnt 0x0
	s_barrier_signal -1
	s_barrier_wait -1
	global_inv scope:SCOPE_SE
	s_clause 0x5
	global_load_b128 v[8:11], v8, s[4:5] offset:1440
	global_load_b128 v[15:18], v14, s[4:5] offset:1696
	;; [unrolled: 1-line block ×6, first 2 shown]
	ds_load_b128 v[35:38], v2 offset:1536
	ds_load_b128 v[39:42], v2 offset:1792
	;; [unrolled: 1-line block ×6, first 2 shown]
	v_add_nc_u32_e32 v0, 0x800, v3
	s_wait_loadcnt_dscnt 0x505
	v_mul_f64_e32 v[59:60], v[37:38], v[10:11]
	v_mul_f64_e32 v[10:11], v[35:36], v[10:11]
	s_wait_loadcnt_dscnt 0x404
	v_mul_f64_e32 v[61:62], v[41:42], v[17:18]
	v_mul_f64_e32 v[17:18], v[39:40], v[17:18]
	;; [unrolled: 3-line block ×6, first 2 shown]
	v_fma_f64 v[35:36], v[35:36], v[8:9], -v[59:60]
	v_fma_f64 v[37:38], v[37:38], v[8:9], v[10:11]
	v_fma_f64 v[39:40], v[39:40], v[15:16], -v[61:62]
	v_fma_f64 v[41:42], v[41:42], v[15:16], v[17:18]
	;; [unrolled: 2-line block ×6, first 2 shown]
	ds_load_b128 v[8:11], v5
	ds_load_b128 v[14:17], v3 offset:256
	ds_load_b128 v[18:21], v3 offset:512
	;; [unrolled: 1-line block ×5, first 2 shown]
	global_wb scope:SCOPE_SE
	s_wait_dscnt 0x0
	s_barrier_signal -1
	s_barrier_wait -1
	global_inv scope:SCOPE_SE
	v_add_f64_e64 v[34:35], v[8:9], -v[35:36]
	v_add_f64_e64 v[36:37], v[10:11], -v[37:38]
	;; [unrolled: 1-line block ×12, first 2 shown]
	v_fma_f64 v[8:9], v[8:9], 2.0, -v[34:35]
	v_fma_f64 v[10:11], v[10:11], 2.0, -v[36:37]
	;; [unrolled: 1-line block ×12, first 2 shown]
	ds_store_b128 v2, v[8:11]
	ds_store_b128 v2, v[34:37] offset:1536
	ds_store_b128 v3, v[14:17] offset:256
	ds_store_2addr_b64 v3, v[38:39], v[40:41] offset0:224 offset1:225
	ds_store_b128 v3, v[18:21] offset:512
	ds_store_2addr_b64 v0, v[42:43], v[44:45] offset1:1
	ds_store_b128 v3, v[22:25] offset:768
	ds_store_2addr_b64 v0, v[46:47], v[48:49] offset0:32 offset1:33
	ds_store_b128 v3, v[26:29] offset:1024
	ds_store_2addr_b64 v0, v[50:51], v[52:53] offset0:64 offset1:65
	;; [unrolled: 2-line block ×3, first 2 shown]
	global_wb scope:SCOPE_SE
	s_wait_dscnt 0x0
	s_barrier_signal -1
	s_barrier_wait -1
	global_inv scope:SCOPE_SE
	s_and_saveexec_b32 s0, vcc_lo
	s_cbranch_execz .LBB0_19
; %bb.18:
	v_lshl_add_u32 v37, v4, 4, v13
	v_dual_mov_b32 v5, v1 :: v_dual_add_nc_u32 v0, 16, v4
	v_add_co_u32 v38, vcc_lo, s8, v6
	ds_load_b128 v[8:11], v37
	ds_load_b128 v[12:15], v37 offset:256
	v_lshlrev_b64_e32 v[2:3], 4, v[4:5]
	v_lshlrev_b64_e32 v[16:17], 4, v[0:1]
	s_wait_alu 0xfffd
	v_add_co_ci_u32_e32 v39, vcc_lo, s9, v7, vcc_lo
	v_add_nc_u32_e32 v0, 32, v4
	s_delay_alu instid0(VALU_DEP_4) | instskip(SKIP_1) | instid1(VALU_DEP_3)
	v_add_co_u32 v2, vcc_lo, v38, v2
	s_wait_alu 0xfffd
	v_add_co_ci_u32_e32 v3, vcc_lo, v39, v3, vcc_lo
	s_delay_alu instid0(VALU_DEP_3)
	v_lshlrev_b64_e32 v[5:6], 4, v[0:1]
	v_add_co_u32 v16, vcc_lo, v38, v16
	s_wait_alu 0xfffd
	v_add_co_ci_u32_e32 v17, vcc_lo, v39, v17, vcc_lo
	v_add_nc_u32_e32 v0, 48, v4
	s_wait_dscnt 0x1
	global_store_b128 v[2:3], v[8:11], off
	s_wait_dscnt 0x0
	global_store_b128 v[16:17], v[12:15], off
	v_add_co_u32 v2, vcc_lo, v38, v5
	v_lshlrev_b64_e32 v[21:22], 4, v[0:1]
	v_add_nc_u32_e32 v0, 64, v4
	s_wait_alu 0xfffd
	v_add_co_ci_u32_e32 v3, vcc_lo, v39, v6, vcc_lo
	ds_load_b128 v[5:8], v37 offset:512
	ds_load_b128 v[9:12], v37 offset:768
	;; [unrolled: 1-line block ×4, first 2 shown]
	v_lshlrev_b64_e32 v[23:24], 4, v[0:1]
	v_add_nc_u32_e32 v0, 0x50, v4
	v_add_co_u32 v21, vcc_lo, v38, v21
	s_wait_alu 0xfffd
	v_add_co_ci_u32_e32 v22, vcc_lo, v39, v22, vcc_lo
	s_delay_alu instid0(VALU_DEP_3) | instskip(SKIP_4) | instid1(VALU_DEP_3)
	v_lshlrev_b64_e32 v[25:26], 4, v[0:1]
	v_add_nc_u32_e32 v0, 0x60, v4
	v_add_co_u32 v23, vcc_lo, v38, v23
	s_wait_alu 0xfffd
	v_add_co_ci_u32_e32 v24, vcc_lo, v39, v24, vcc_lo
	v_lshlrev_b64_e32 v[27:28], 4, v[0:1]
	v_add_nc_u32_e32 v0, 0x70, v4
	v_add_co_u32 v25, vcc_lo, v38, v25
	s_wait_alu 0xfffd
	v_add_co_ci_u32_e32 v26, vcc_lo, v39, v26, vcc_lo
	s_wait_dscnt 0x3
	global_store_b128 v[2:3], v[5:8], off
	s_wait_dscnt 0x2
	global_store_b128 v[21:22], v[9:12], off
	;; [unrolled: 2-line block ×4, first 2 shown]
	v_lshlrev_b64_e32 v[2:3], 4, v[0:1]
	v_add_nc_u32_e32 v0, 0x80, v4
	v_add_co_u32 v29, vcc_lo, v38, v27
	s_wait_alu 0xfffd
	v_add_co_ci_u32_e32 v30, vcc_lo, v39, v28, vcc_lo
	s_delay_alu instid0(VALU_DEP_3) | instskip(SKIP_4) | instid1(VALU_DEP_4)
	v_lshlrev_b64_e32 v[13:14], 4, v[0:1]
	v_add_co_u32 v2, vcc_lo, v38, v2
	v_add_nc_u32_e32 v0, 0x90, v4
	s_wait_alu 0xfffd
	v_add_co_ci_u32_e32 v3, vcc_lo, v39, v3, vcc_lo
	v_add_co_u32 v33, vcc_lo, v38, v13
	ds_load_b128 v[5:8], v37 offset:1536
	ds_load_b128 v[9:12], v37 offset:1792
	s_wait_alu 0xfffd
	v_add_co_ci_u32_e32 v34, vcc_lo, v39, v14, vcc_lo
	ds_load_b128 v[13:16], v37 offset:2048
	ds_load_b128 v[17:20], v37 offset:2304
	;; [unrolled: 1-line block ×4, first 2 shown]
	v_lshlrev_b64_e32 v[31:32], 4, v[0:1]
	v_add_nc_u32_e32 v0, 0xa0, v4
	s_delay_alu instid0(VALU_DEP_1) | instskip(SKIP_1) | instid1(VALU_DEP_4)
	v_lshlrev_b64_e32 v[35:36], 4, v[0:1]
	v_add_nc_u32_e32 v0, 0xb0, v4
	v_add_co_u32 v31, vcc_lo, v38, v31
	s_wait_alu 0xfffd
	v_add_co_ci_u32_e32 v32, vcc_lo, v39, v32, vcc_lo
	s_delay_alu instid0(VALU_DEP_3) | instskip(SKIP_3) | instid1(VALU_DEP_3)
	v_lshlrev_b64_e32 v[0:1], 4, v[0:1]
	v_add_co_u32 v35, vcc_lo, v38, v35
	s_wait_alu 0xfffd
	v_add_co_ci_u32_e32 v36, vcc_lo, v39, v36, vcc_lo
	v_add_co_u32 v0, vcc_lo, v38, v0
	s_wait_alu 0xfffd
	v_add_co_ci_u32_e32 v1, vcc_lo, v39, v1, vcc_lo
	s_wait_dscnt 0x5
	global_store_b128 v[29:30], v[5:8], off
	s_wait_dscnt 0x4
	global_store_b128 v[2:3], v[9:12], off
	;; [unrolled: 2-line block ×6, first 2 shown]
.LBB0_19:
	s_nop 0
	s_sendmsg sendmsg(MSG_DEALLOC_VGPRS)
	s_endpgm
	.section	.rodata,"a",@progbits
	.p2align	6, 0x0
	.amdhsa_kernel fft_rtc_fwd_len192_factors_6_4_4_2_wgs_128_tpt_16_halfLds_dp_ip_CI_unitstride_sbrr_C2R_dirReg
		.amdhsa_group_segment_fixed_size 0
		.amdhsa_private_segment_fixed_size 0
		.amdhsa_kernarg_size 88
		.amdhsa_user_sgpr_count 2
		.amdhsa_user_sgpr_dispatch_ptr 0
		.amdhsa_user_sgpr_queue_ptr 0
		.amdhsa_user_sgpr_kernarg_segment_ptr 1
		.amdhsa_user_sgpr_dispatch_id 0
		.amdhsa_user_sgpr_private_segment_size 0
		.amdhsa_wavefront_size32 1
		.amdhsa_uses_dynamic_stack 0
		.amdhsa_enable_private_segment 0
		.amdhsa_system_sgpr_workgroup_id_x 1
		.amdhsa_system_sgpr_workgroup_id_y 0
		.amdhsa_system_sgpr_workgroup_id_z 0
		.amdhsa_system_sgpr_workgroup_info 0
		.amdhsa_system_vgpr_workitem_id 0
		.amdhsa_next_free_vgpr 90
		.amdhsa_next_free_sgpr 32
		.amdhsa_reserve_vcc 1
		.amdhsa_float_round_mode_32 0
		.amdhsa_float_round_mode_16_64 0
		.amdhsa_float_denorm_mode_32 3
		.amdhsa_float_denorm_mode_16_64 3
		.amdhsa_fp16_overflow 0
		.amdhsa_workgroup_processor_mode 1
		.amdhsa_memory_ordered 1
		.amdhsa_forward_progress 0
		.amdhsa_round_robin_scheduling 0
		.amdhsa_exception_fp_ieee_invalid_op 0
		.amdhsa_exception_fp_denorm_src 0
		.amdhsa_exception_fp_ieee_div_zero 0
		.amdhsa_exception_fp_ieee_overflow 0
		.amdhsa_exception_fp_ieee_underflow 0
		.amdhsa_exception_fp_ieee_inexact 0
		.amdhsa_exception_int_div_zero 0
	.end_amdhsa_kernel
	.text
.Lfunc_end0:
	.size	fft_rtc_fwd_len192_factors_6_4_4_2_wgs_128_tpt_16_halfLds_dp_ip_CI_unitstride_sbrr_C2R_dirReg, .Lfunc_end0-fft_rtc_fwd_len192_factors_6_4_4_2_wgs_128_tpt_16_halfLds_dp_ip_CI_unitstride_sbrr_C2R_dirReg
                                        ; -- End function
	.section	.AMDGPU.csdata,"",@progbits
; Kernel info:
; codeLenInByte = 7620
; NumSgprs: 34
; NumVgprs: 90
; ScratchSize: 0
; MemoryBound: 0
; FloatMode: 240
; IeeeMode: 1
; LDSByteSize: 0 bytes/workgroup (compile time only)
; SGPRBlocks: 4
; VGPRBlocks: 11
; NumSGPRsForWavesPerEU: 34
; NumVGPRsForWavesPerEU: 90
; Occupancy: 16
; WaveLimiterHint : 1
; COMPUTE_PGM_RSRC2:SCRATCH_EN: 0
; COMPUTE_PGM_RSRC2:USER_SGPR: 2
; COMPUTE_PGM_RSRC2:TRAP_HANDLER: 0
; COMPUTE_PGM_RSRC2:TGID_X_EN: 1
; COMPUTE_PGM_RSRC2:TGID_Y_EN: 0
; COMPUTE_PGM_RSRC2:TGID_Z_EN: 0
; COMPUTE_PGM_RSRC2:TIDIG_COMP_CNT: 0
	.text
	.p2alignl 7, 3214868480
	.fill 96, 4, 3214868480
	.type	__hip_cuid_6d8205b21c9775f3,@object ; @__hip_cuid_6d8205b21c9775f3
	.section	.bss,"aw",@nobits
	.globl	__hip_cuid_6d8205b21c9775f3
__hip_cuid_6d8205b21c9775f3:
	.byte	0                               ; 0x0
	.size	__hip_cuid_6d8205b21c9775f3, 1

	.ident	"AMD clang version 19.0.0git (https://github.com/RadeonOpenCompute/llvm-project roc-6.4.0 25133 c7fe45cf4b819c5991fe208aaa96edf142730f1d)"
	.section	".note.GNU-stack","",@progbits
	.addrsig
	.addrsig_sym __hip_cuid_6d8205b21c9775f3
	.amdgpu_metadata
---
amdhsa.kernels:
  - .args:
      - .actual_access:  read_only
        .address_space:  global
        .offset:         0
        .size:           8
        .value_kind:     global_buffer
      - .offset:         8
        .size:           8
        .value_kind:     by_value
      - .actual_access:  read_only
        .address_space:  global
        .offset:         16
        .size:           8
        .value_kind:     global_buffer
      - .actual_access:  read_only
        .address_space:  global
        .offset:         24
        .size:           8
        .value_kind:     global_buffer
      - .offset:         32
        .size:           8
        .value_kind:     by_value
      - .actual_access:  read_only
        .address_space:  global
        .offset:         40
        .size:           8
        .value_kind:     global_buffer
      - .actual_access:  read_only
        .address_space:  global
        .offset:         48
        .size:           8
        .value_kind:     global_buffer
      - .offset:         56
        .size:           4
        .value_kind:     by_value
      - .actual_access:  read_only
        .address_space:  global
        .offset:         64
        .size:           8
        .value_kind:     global_buffer
      - .actual_access:  read_only
        .address_space:  global
        .offset:         72
        .size:           8
        .value_kind:     global_buffer
      - .address_space:  global
        .offset:         80
        .size:           8
        .value_kind:     global_buffer
    .group_segment_fixed_size: 0
    .kernarg_segment_align: 8
    .kernarg_segment_size: 88
    .language:       OpenCL C
    .language_version:
      - 2
      - 0
    .max_flat_workgroup_size: 128
    .name:           fft_rtc_fwd_len192_factors_6_4_4_2_wgs_128_tpt_16_halfLds_dp_ip_CI_unitstride_sbrr_C2R_dirReg
    .private_segment_fixed_size: 0
    .sgpr_count:     34
    .sgpr_spill_count: 0
    .symbol:         fft_rtc_fwd_len192_factors_6_4_4_2_wgs_128_tpt_16_halfLds_dp_ip_CI_unitstride_sbrr_C2R_dirReg.kd
    .uniform_work_group_size: 1
    .uses_dynamic_stack: false
    .vgpr_count:     90
    .vgpr_spill_count: 0
    .wavefront_size: 32
    .workgroup_processor_mode: 1
amdhsa.target:   amdgcn-amd-amdhsa--gfx1201
amdhsa.version:
  - 1
  - 2
...

	.end_amdgpu_metadata
